;; amdgpu-corpus repo=ROCm/rocFFT kind=compiled arch=gfx906 opt=O3
	.text
	.amdgcn_target "amdgcn-amd-amdhsa--gfx906"
	.amdhsa_code_object_version 6
	.protected	fft_rtc_fwd_len1210_factors_2_5_11_11_wgs_110_tpt_110_halfLds_dp_op_CI_CI_unitstride_sbrr_dirReg ; -- Begin function fft_rtc_fwd_len1210_factors_2_5_11_11_wgs_110_tpt_110_halfLds_dp_op_CI_CI_unitstride_sbrr_dirReg
	.globl	fft_rtc_fwd_len1210_factors_2_5_11_11_wgs_110_tpt_110_halfLds_dp_op_CI_CI_unitstride_sbrr_dirReg
	.p2align	8
	.type	fft_rtc_fwd_len1210_factors_2_5_11_11_wgs_110_tpt_110_halfLds_dp_op_CI_CI_unitstride_sbrr_dirReg,@function
fft_rtc_fwd_len1210_factors_2_5_11_11_wgs_110_tpt_110_halfLds_dp_op_CI_CI_unitstride_sbrr_dirReg: ; @fft_rtc_fwd_len1210_factors_2_5_11_11_wgs_110_tpt_110_halfLds_dp_op_CI_CI_unitstride_sbrr_dirReg
; %bb.0:
	s_load_dwordx4 s[8:11], s[4:5], 0x58
	s_load_dwordx4 s[12:15], s[4:5], 0x0
	;; [unrolled: 1-line block ×3, first 2 shown]
	v_mul_u32_u24_e32 v1, 0x254, v0
	v_add_u32_sdwa v6, s6, v1 dst_sel:DWORD dst_unused:UNUSED_PAD src0_sel:DWORD src1_sel:WORD_1
	v_mov_b32_e32 v1, 0
	s_waitcnt lgkmcnt(0)
	v_cmp_lt_u64_e64 s[0:1], s[14:15], 2
	v_mov_b32_e32 v4, 0
	v_mov_b32_e32 v7, v1
	s_and_b64 vcc, exec, s[0:1]
	v_mov_b32_e32 v5, 0
	s_cbranch_vccnz .LBB0_8
; %bb.1:
	s_load_dwordx2 s[0:1], s[4:5], 0x10
	s_add_u32 s2, s18, 8
	s_addc_u32 s3, s19, 0
	s_add_u32 s6, s16, 8
	v_mov_b32_e32 v4, 0
	s_addc_u32 s7, s17, 0
	v_mov_b32_e32 v5, 0
	s_waitcnt lgkmcnt(0)
	s_add_u32 s20, s0, 8
	v_mov_b32_e32 v75, v5
	s_addc_u32 s21, s1, 0
	s_mov_b64 s[22:23], 1
	v_mov_b32_e32 v74, v4
.LBB0_2:                                ; =>This Inner Loop Header: Depth=1
	s_load_dwordx2 s[24:25], s[20:21], 0x0
                                        ; implicit-def: $vgpr76_vgpr77
	s_waitcnt lgkmcnt(0)
	v_or_b32_e32 v2, s25, v7
	v_cmp_ne_u64_e32 vcc, 0, v[1:2]
	s_and_saveexec_b64 s[0:1], vcc
	s_xor_b64 s[26:27], exec, s[0:1]
	s_cbranch_execz .LBB0_4
; %bb.3:                                ;   in Loop: Header=BB0_2 Depth=1
	v_cvt_f32_u32_e32 v2, s24
	v_cvt_f32_u32_e32 v3, s25
	s_sub_u32 s0, 0, s24
	s_subb_u32 s1, 0, s25
	v_mac_f32_e32 v2, 0x4f800000, v3
	v_rcp_f32_e32 v2, v2
	v_mul_f32_e32 v2, 0x5f7ffffc, v2
	v_mul_f32_e32 v3, 0x2f800000, v2
	v_trunc_f32_e32 v3, v3
	v_mac_f32_e32 v2, 0xcf800000, v3
	v_cvt_u32_f32_e32 v3, v3
	v_cvt_u32_f32_e32 v2, v2
	v_mul_lo_u32 v8, s0, v3
	v_mul_hi_u32 v9, s0, v2
	v_mul_lo_u32 v11, s1, v2
	v_mul_lo_u32 v10, s0, v2
	v_add_u32_e32 v8, v9, v8
	v_add_u32_e32 v8, v8, v11
	v_mul_hi_u32 v9, v2, v10
	v_mul_lo_u32 v11, v2, v8
	v_mul_hi_u32 v13, v2, v8
	v_mul_hi_u32 v12, v3, v10
	v_mul_lo_u32 v10, v3, v10
	v_mul_hi_u32 v14, v3, v8
	v_add_co_u32_e32 v9, vcc, v9, v11
	v_addc_co_u32_e32 v11, vcc, 0, v13, vcc
	v_mul_lo_u32 v8, v3, v8
	v_add_co_u32_e32 v9, vcc, v9, v10
	v_addc_co_u32_e32 v9, vcc, v11, v12, vcc
	v_addc_co_u32_e32 v10, vcc, 0, v14, vcc
	v_add_co_u32_e32 v8, vcc, v9, v8
	v_addc_co_u32_e32 v9, vcc, 0, v10, vcc
	v_add_co_u32_e32 v2, vcc, v2, v8
	v_addc_co_u32_e32 v3, vcc, v3, v9, vcc
	v_mul_lo_u32 v8, s0, v3
	v_mul_hi_u32 v9, s0, v2
	v_mul_lo_u32 v10, s1, v2
	v_mul_lo_u32 v11, s0, v2
	v_add_u32_e32 v8, v9, v8
	v_add_u32_e32 v8, v8, v10
	v_mul_lo_u32 v12, v2, v8
	v_mul_hi_u32 v13, v2, v11
	v_mul_hi_u32 v14, v2, v8
	v_mul_hi_u32 v10, v3, v11
	v_mul_lo_u32 v11, v3, v11
	v_mul_hi_u32 v9, v3, v8
	v_add_co_u32_e32 v12, vcc, v13, v12
	v_addc_co_u32_e32 v13, vcc, 0, v14, vcc
	v_mul_lo_u32 v8, v3, v8
	v_add_co_u32_e32 v11, vcc, v12, v11
	v_addc_co_u32_e32 v10, vcc, v13, v10, vcc
	v_addc_co_u32_e32 v9, vcc, 0, v9, vcc
	v_add_co_u32_e32 v8, vcc, v10, v8
	v_addc_co_u32_e32 v9, vcc, 0, v9, vcc
	v_add_co_u32_e32 v8, vcc, v2, v8
	v_addc_co_u32_e32 v9, vcc, v3, v9, vcc
	v_mad_u64_u32 v[2:3], s[0:1], v6, v9, 0
	v_mul_hi_u32 v10, v6, v8
	v_add_co_u32_e32 v10, vcc, v10, v2
	v_addc_co_u32_e32 v11, vcc, 0, v3, vcc
	v_mad_u64_u32 v[2:3], s[0:1], v7, v8, 0
	v_mad_u64_u32 v[8:9], s[0:1], v7, v9, 0
	v_add_co_u32_e32 v2, vcc, v10, v2
	v_addc_co_u32_e32 v2, vcc, v11, v3, vcc
	v_addc_co_u32_e32 v3, vcc, 0, v9, vcc
	v_add_co_u32_e32 v8, vcc, v2, v8
	v_addc_co_u32_e32 v9, vcc, 0, v3, vcc
	v_mul_lo_u32 v10, s25, v8
	v_mul_lo_u32 v11, s24, v9
	v_mad_u64_u32 v[2:3], s[0:1], s24, v8, 0
	v_add3_u32 v3, v3, v11, v10
	v_sub_u32_e32 v10, v7, v3
	v_mov_b32_e32 v11, s25
	v_sub_co_u32_e32 v2, vcc, v6, v2
	v_subb_co_u32_e64 v10, s[0:1], v10, v11, vcc
	v_subrev_co_u32_e64 v11, s[0:1], s24, v2
	v_subbrev_co_u32_e64 v10, s[0:1], 0, v10, s[0:1]
	v_cmp_le_u32_e64 s[0:1], s25, v10
	v_cndmask_b32_e64 v12, 0, -1, s[0:1]
	v_cmp_le_u32_e64 s[0:1], s24, v11
	v_cndmask_b32_e64 v11, 0, -1, s[0:1]
	v_cmp_eq_u32_e64 s[0:1], s25, v10
	v_cndmask_b32_e64 v10, v12, v11, s[0:1]
	v_add_co_u32_e64 v11, s[0:1], 2, v8
	v_addc_co_u32_e64 v12, s[0:1], 0, v9, s[0:1]
	v_add_co_u32_e64 v13, s[0:1], 1, v8
	v_addc_co_u32_e64 v14, s[0:1], 0, v9, s[0:1]
	v_subb_co_u32_e32 v3, vcc, v7, v3, vcc
	v_cmp_ne_u32_e64 s[0:1], 0, v10
	v_cmp_le_u32_e32 vcc, s25, v3
	v_cndmask_b32_e64 v10, v14, v12, s[0:1]
	v_cndmask_b32_e64 v12, 0, -1, vcc
	v_cmp_le_u32_e32 vcc, s24, v2
	v_cndmask_b32_e64 v2, 0, -1, vcc
	v_cmp_eq_u32_e32 vcc, s25, v3
	v_cndmask_b32_e32 v2, v12, v2, vcc
	v_cmp_ne_u32_e32 vcc, 0, v2
	v_cndmask_b32_e64 v2, v13, v11, s[0:1]
	v_cndmask_b32_e32 v77, v9, v10, vcc
	v_cndmask_b32_e32 v76, v8, v2, vcc
.LBB0_4:                                ;   in Loop: Header=BB0_2 Depth=1
	s_andn2_saveexec_b64 s[0:1], s[26:27]
	s_cbranch_execz .LBB0_6
; %bb.5:                                ;   in Loop: Header=BB0_2 Depth=1
	v_cvt_f32_u32_e32 v2, s24
	s_sub_i32 s26, 0, s24
	v_mov_b32_e32 v77, v1
	v_rcp_iflag_f32_e32 v2, v2
	v_mul_f32_e32 v2, 0x4f7ffffe, v2
	v_cvt_u32_f32_e32 v2, v2
	v_mul_lo_u32 v3, s26, v2
	v_mul_hi_u32 v3, v2, v3
	v_add_u32_e32 v2, v2, v3
	v_mul_hi_u32 v2, v6, v2
	v_mul_lo_u32 v3, v2, s24
	v_add_u32_e32 v8, 1, v2
	v_sub_u32_e32 v3, v6, v3
	v_subrev_u32_e32 v9, s24, v3
	v_cmp_le_u32_e32 vcc, s24, v3
	v_cndmask_b32_e32 v3, v3, v9, vcc
	v_cndmask_b32_e32 v2, v2, v8, vcc
	v_add_u32_e32 v8, 1, v2
	v_cmp_le_u32_e32 vcc, s24, v3
	v_cndmask_b32_e32 v76, v2, v8, vcc
.LBB0_6:                                ;   in Loop: Header=BB0_2 Depth=1
	s_or_b64 exec, exec, s[0:1]
	v_mul_lo_u32 v8, v77, s24
	v_mul_lo_u32 v9, v76, s25
	v_mad_u64_u32 v[2:3], s[0:1], v76, s24, 0
	s_load_dwordx2 s[0:1], s[6:7], 0x0
	s_load_dwordx2 s[24:25], s[2:3], 0x0
	v_add3_u32 v3, v3, v9, v8
	v_sub_co_u32_e32 v2, vcc, v6, v2
	v_subb_co_u32_e32 v3, vcc, v7, v3, vcc
	s_waitcnt lgkmcnt(0)
	v_mul_lo_u32 v6, s0, v3
	v_mul_lo_u32 v7, s1, v2
	v_mad_u64_u32 v[4:5], s[0:1], s0, v2, v[4:5]
	v_mul_lo_u32 v3, s24, v3
	v_mul_lo_u32 v8, s25, v2
	v_mad_u64_u32 v[74:75], s[0:1], s24, v2, v[74:75]
	s_add_u32 s22, s22, 1
	s_addc_u32 s23, s23, 0
	s_add_u32 s2, s2, 8
	v_add3_u32 v75, v8, v75, v3
	s_addc_u32 s3, s3, 0
	v_mov_b32_e32 v2, s14
	s_add_u32 s6, s6, 8
	v_mov_b32_e32 v3, s15
	s_addc_u32 s7, s7, 0
	v_cmp_ge_u64_e32 vcc, s[22:23], v[2:3]
	s_add_u32 s20, s20, 8
	v_add3_u32 v5, v7, v5, v6
	s_addc_u32 s21, s21, 0
	s_cbranch_vccnz .LBB0_9
; %bb.7:                                ;   in Loop: Header=BB0_2 Depth=1
	v_mov_b32_e32 v6, v76
	v_mov_b32_e32 v7, v77
	s_branch .LBB0_2
.LBB0_8:
	v_mov_b32_e32 v75, v5
	v_mov_b32_e32 v77, v7
	;; [unrolled: 1-line block ×4, first 2 shown]
.LBB0_9:
	s_load_dwordx2 s[2:3], s[4:5], 0x28
	s_lshl_b64 s[6:7], s[14:15], 3
	s_add_u32 s4, s18, s6
	s_addc_u32 s5, s19, s7
                                        ; implicit-def: $sgpr14
                                        ; implicit-def: $vgpr79
	s_waitcnt lgkmcnt(0)
	v_cmp_gt_u64_e64 s[0:1], s[2:3], v[76:77]
	v_cmp_le_u64_e32 vcc, s[2:3], v[76:77]
	s_and_saveexec_b64 s[2:3], vcc
	s_xor_b64 s[2:3], exec, s[2:3]
; %bb.10:
	s_mov_b32 s14, 0x253c826
	v_mul_hi_u32 v1, v0, s14
	s_mov_b32 s14, 0
                                        ; implicit-def: $vgpr4_vgpr5
	v_mul_u32_u24_e32 v1, 0x6e, v1
	v_sub_u32_e32 v79, v0, v1
                                        ; implicit-def: $vgpr0
; %bb.11:
	s_or_saveexec_b64 s[2:3], s[2:3]
	s_load_dwordx2 s[4:5], s[4:5], 0x0
	v_mov_b32_e32 v78, s14
                                        ; implicit-def: $vgpr68_vgpr69
                                        ; implicit-def: $vgpr64_vgpr65
                                        ; implicit-def: $vgpr56_vgpr57
                                        ; implicit-def: $vgpr44_vgpr45
                                        ; implicit-def: $vgpr40_vgpr41
                                        ; implicit-def: $vgpr10_vgpr11
                                        ; implicit-def: $vgpr2_vgpr3
                                        ; implicit-def: $vgpr48_vgpr49
                                        ; implicit-def: $vgpr36_vgpr37
                                        ; implicit-def: $vgpr52_vgpr53
                                        ; implicit-def: $vgpr72_vgpr73
                                        ; implicit-def: $vgpr60_vgpr61
	s_xor_b64 exec, exec, s[2:3]
	s_cbranch_execz .LBB0_15
; %bb.12:
	s_add_u32 s6, s16, s6
	s_addc_u32 s7, s17, s7
	s_load_dwordx2 s[6:7], s[6:7], 0x0
	s_mov_b32 s14, 0x253c826
	v_mul_hi_u32 v3, v0, s14
                                        ; implicit-def: $vgpr62_vgpr63
                                        ; implicit-def: $vgpr66_vgpr67
	s_waitcnt lgkmcnt(0)
	v_mul_lo_u32 v6, s7, v76
	v_mul_lo_u32 v7, s6, v77
	v_mad_u64_u32 v[1:2], s[6:7], s6, v76, 0
	v_mul_u32_u24_e32 v3, 0x6e, v3
	v_sub_u32_e32 v79, v0, v3
	v_add3_u32 v2, v2, v7, v6
	v_lshlrev_b64 v[0:1], 4, v[1:2]
	v_mov_b32_e32 v2, s9
	v_add_co_u32_e32 v3, vcc, s8, v0
	v_addc_co_u32_e32 v2, vcc, v2, v1, vcc
	v_lshlrev_b64 v[0:1], 4, v[4:5]
	s_movk_i32 s6, 0x2000
	v_add_co_u32_e32 v0, vcc, v3, v0
	v_addc_co_u32_e32 v1, vcc, v2, v1, vcc
	v_lshlrev_b32_e32 v2, 4, v79
	v_add_co_u32_e32 v4, vcc, v0, v2
	v_addc_co_u32_e32 v5, vcc, 0, v1, vcc
	v_add_co_u32_e32 v6, vcc, s6, v4
	v_addc_co_u32_e32 v7, vcc, 0, v5, vcc
	s_movk_i32 s6, 0x3000
	v_add_co_u32_e32 v12, vcc, s6, v4
	v_addc_co_u32_e32 v13, vcc, 0, v5, vcc
	s_movk_i32 s6, 0x1000
	v_add_co_u32_e32 v14, vcc, s6, v4
	v_addc_co_u32_e32 v15, vcc, 0, v5, vcc
	global_load_dwordx4 v[34:37], v[6:7], off offset:3248
	global_load_dwordx4 v[0:3], v[12:13], off offset:912
	;; [unrolled: 1-line block ×4, first 2 shown]
	v_add_co_u32_e32 v12, vcc, 0x4000, v4
	v_addc_co_u32_e32 v13, vcc, 0, v5, vcc
	global_load_dwordx4 v[42:45], v[14:15], off offset:2944
	global_load_dwordx4 v[54:57], v[12:13], off offset:336
	global_load_dwordx4 v[58:61], v[4:5], off
	global_load_dwordx4 v[50:53], v[4:5], off offset:1760
	global_load_dwordx4 v[70:73], v[6:7], off offset:1488
	;; [unrolled: 1-line block ×3, first 2 shown]
	v_cmp_gt_u32_e32 vcc, 55, v79
	s_and_saveexec_b64 s[6:7], vcc
	s_cbranch_execz .LBB0_14
; %bb.13:
	v_add_co_u32_e32 v6, vcc, 0x2000, v4
	v_addc_co_u32_e32 v7, vcc, 0, v5, vcc
	v_add_co_u32_e32 v4, vcc, 0x4000, v4
	v_addc_co_u32_e32 v5, vcc, 0, v5, vcc
	global_load_dwordx4 v[62:65], v[6:7], off offset:608
	global_load_dwordx4 v[66:69], v[4:5], off offset:2096
.LBB0_14:
	s_or_b64 exec, exec, s[6:7]
	v_mov_b32_e32 v78, v79
.LBB0_15:
	s_or_b64 exec, exec, s[2:3]
	s_waitcnt vmcnt(1)
	v_add_f64 v[14:15], v[58:59], -v[70:71]
	s_waitcnt vmcnt(0)
	v_add_f64 v[22:23], v[46:47], -v[0:1]
	v_add_f64 v[6:7], v[62:63], -v[66:67]
	v_add_f64 v[18:19], v[50:51], -v[34:35]
	v_add_f64 v[26:27], v[8:9], -v[38:39]
	v_add_f64 v[30:31], v[42:43], -v[54:55]
	v_add_u32_e32 v70, 0x6e, v79
	v_add_u32_e32 v81, 0xdc, v79
	v_fma_f64 v[12:13], v[58:59], 2.0, -v[14:15]
	v_fma_f64 v[20:21], v[46:47], 2.0, -v[22:23]
	;; [unrolled: 1-line block ×6, first 2 shown]
	v_add_u32_e32 v0, 0x226, v79
	v_lshl_add_u32 v71, v79, 4, 0
	v_lshl_add_u32 v38, v70, 4, 0
	;; [unrolled: 1-line block ×3, first 2 shown]
	v_cmp_gt_u32_e64 s[2:3], 55, v79
	v_lshl_add_u32 v8, v0, 4, 0
	ds_write_b128 v71, v[12:15]
	ds_write_b128 v38, v[16:19]
	;; [unrolled: 1-line block ×3, first 2 shown]
	ds_write_b128 v71, v[24:27] offset:5280
	ds_write_b128 v71, v[28:31] offset:7040
	s_and_saveexec_b64 s[6:7], s[2:3]
	s_cbranch_execz .LBB0_17
; %bb.16:
	ds_write_b128 v8, v[4:7]
.LBB0_17:
	s_or_b64 exec, exec, s[6:7]
	v_lshlrev_b32_e32 v0, 3, v79
	v_sub_u32_e32 v1, v71, v0
	v_add_u32_e32 v20, 0xc00, v1
	s_waitcnt lgkmcnt(0)
	s_barrier
	ds_read2_b64 v[12:15], v1 offset1:110
	v_add_u32_e32 v16, 0x400, v1
	ds_read2_b64 v[28:31], v20 offset0:100 offset1:210
	v_add_u32_e32 v20, 0x1400, v1
	v_add_u32_e32 v1, 0x1c00, v1
	ds_read2_b64 v[16:19], v16 offset0:114 offset1:224
	ds_read2_b64 v[24:27], v20 offset0:86 offset1:196
	;; [unrolled: 1-line block ×3, first 2 shown]
	v_sub_u32_e32 v0, 0, v0
	v_add_u32_e32 v39, 0x14a0, v71
	v_add_u32_e32 v42, 0x1b80, v71
	v_cmp_gt_u32_e32 vcc, 22, v79
	v_add_u32_e32 v80, v71, v0
                                        ; implicit-def: $vgpr58_vgpr59
                                        ; implicit-def: $vgpr34_vgpr35
	s_and_saveexec_b64 s[6:7], vcc
	s_cbranch_execz .LBB0_19
; %bb.18:
	v_add_u32_e32 v0, 0x680, v80
	ds_read2_b64 v[4:7], v0 offset0:12 offset1:254
	v_add_u32_e32 v0, 0x1600, v80
	ds_read2_b64 v[32:35], v0 offset1:242
	ds_read_b64 v[58:59], v80 offset:9504
.LBB0_19:
	s_or_b64 exec, exec, s[6:7]
	v_add_f64 v[62:63], v[60:61], -v[72:73]
	v_add_f64 v[50:51], v[48:49], -v[2:3]
	;; [unrolled: 1-line block ×6, first 2 shown]
	s_waitcnt lgkmcnt(0)
	s_barrier
	v_fma_f64 v[60:61], v[60:61], 2.0, -v[62:63]
	v_fma_f64 v[48:49], v[48:49], 2.0, -v[50:51]
	;; [unrolled: 1-line block ×6, first 2 shown]
	ds_write_b128 v71, v[60:63]
	ds_write_b128 v38, v[52:55]
	;; [unrolled: 1-line block ×5, first 2 shown]
	s_and_saveexec_b64 s[6:7], s[2:3]
	s_cbranch_execz .LBB0_21
; %bb.20:
	ds_write_b128 v8, v[0:3]
.LBB0_21:
	s_or_b64 exec, exec, s[6:7]
	v_add_u32_e32 v40, 0xc00, v80
	s_waitcnt lgkmcnt(0)
	s_barrier
	ds_read2_b64 v[48:51], v40 offset0:100 offset1:210
	v_add_u32_e32 v40, 0x1400, v80
	v_add_u32_e32 v36, 0x400, v80
	ds_read2_b64 v[44:47], v40 offset0:86 offset1:196
	v_add_u32_e32 v40, 0x1c00, v80
	ds_read2_b64 v[8:11], v80 offset1:110
	ds_read2_b64 v[36:39], v36 offset0:114 offset1:224
	ds_read2_b64 v[40:43], v40 offset0:72 offset1:182
                                        ; implicit-def: $vgpr56_vgpr57
                                        ; implicit-def: $vgpr54_vgpr55
	s_and_saveexec_b64 s[2:3], vcc
	s_cbranch_execz .LBB0_23
; %bb.22:
	v_add_u32_e32 v0, 0x680, v80
	v_add_u32_e32 v52, 0x1600, v80
	ds_read2_b64 v[0:3], v0 offset0:12 offset1:254
	ds_read2_b64 v[52:55], v52 offset1:242
	ds_read_b64 v[56:57], v80 offset:9504
.LBB0_23:
	s_or_b64 exec, exec, s[2:3]
	v_and_b32_e32 v72, 1, v79
	v_lshlrev_b32_e32 v60, 6, v72
	global_load_dwordx4 v[83:86], v60, s[12:13] offset:16
	global_load_dwordx4 v[87:90], v60, s[12:13] offset:32
	global_load_dwordx4 v[91:94], v60, s[12:13]
	global_load_dwordx4 v[95:98], v60, s[12:13] offset:48
	v_lshrrev_b32_e32 v60, 1, v79
	v_lshrrev_b32_e32 v61, 1, v70
	v_mul_u32_u24_e32 v60, 10, v60
	v_mul_u32_u24_e32 v61, 10, v61
	v_or_b32_e32 v60, v60, v72
	v_or_b32_e32 v61, v61, v72
	v_lshl_add_u32 v82, v60, 3, 0
	v_lshl_add_u32 v73, v61, 3, 0
	s_mov_b32 s8, 0x134454ff
	s_mov_b32 s9, 0x3fee6f0e
	;; [unrolled: 1-line block ×10, first 2 shown]
	s_waitcnt vmcnt(0) lgkmcnt(0)
	s_barrier
	v_mul_f64 v[60:61], v[48:49], v[85:86]
	v_mul_f64 v[62:63], v[50:51], v[85:86]
	;; [unrolled: 1-line block ×18, first 2 shown]
	v_fma_f64 v[66:67], v[28:29], v[83:84], -v[60:61]
	v_fma_f64 v[60:61], v[30:31], v[83:84], -v[62:63]
	v_fma_f64 v[62:63], v[48:49], v[83:84], v[64:65]
	v_fma_f64 v[48:49], v[50:51], v[83:84], v[68:69]
	v_fma_f64 v[68:69], v[24:25], v[87:88], -v[70:71]
	v_mul_f64 v[123:124], v[22:23], v[97:98]
	v_mul_f64 v[125:126], v[56:57], v[97:98]
	;; [unrolled: 1-line block ×3, first 2 shown]
	v_fma_f64 v[64:65], v[26:27], v[87:88], -v[99:100]
	v_fma_f64 v[50:51], v[44:45], v[87:88], v[101:102]
	v_fma_f64 v[44:45], v[46:47], v[87:88], v[103:104]
	;; [unrolled: 1-line block ×3, first 2 shown]
	v_fma_f64 v[54:55], v[16:17], v[91:92], -v[109:110]
	v_fma_f64 v[46:47], v[18:19], v[91:92], -v[111:112]
	;; [unrolled: 1-line block ×4, first 2 shown]
	v_mul_f64 v[115:116], v[18:19], v[93:94]
	v_fma_f64 v[28:29], v[52:53], v[83:84], v[85:86]
	v_fma_f64 v[52:53], v[36:37], v[91:92], v[113:114]
	;; [unrolled: 1-line block ×3, first 2 shown]
	v_add_f64 v[22:23], v[66:67], v[68:69]
	v_fma_f64 v[30:31], v[32:33], v[83:84], -v[105:106]
	v_fma_f64 v[32:33], v[34:35], v[87:88], -v[107:108]
	v_fma_f64 v[16:17], v[42:43], v[95:96], v[123:124]
	v_fma_f64 v[26:27], v[56:57], v[95:96], v[97:98]
	v_add_f64 v[36:37], v[12:13], v[54:55]
	v_add_f64 v[42:43], v[54:55], -v[66:67]
	v_add_f64 v[56:57], v[70:71], -v[68:69]
	v_add_f64 v[83:84], v[54:55], v[70:71]
	v_add_f64 v[85:86], v[60:61], v[64:65]
	;; [unrolled: 1-line block ×3, first 2 shown]
	v_fma_f64 v[18:19], v[38:39], v[91:92], v[115:116]
	v_fma_f64 v[34:35], v[58:59], v[95:96], -v[125:126]
	v_add_f64 v[38:39], v[52:53], -v[40:41]
	v_add_f64 v[95:96], v[66:67], -v[54:55]
	;; [unrolled: 1-line block ×3, first 2 shown]
	v_fma_f64 v[22:23], v[22:23], -0.5, v[12:13]
	v_add_f64 v[58:59], v[62:63], -v[50:51]
	v_add_f64 v[89:90], v[14:15], v[46:47]
	v_add_f64 v[99:100], v[60:61], -v[46:47]
	v_add_f64 v[101:102], v[64:65], -v[20:21]
	;; [unrolled: 1-line block ×3, first 2 shown]
	v_add_f64 v[36:37], v[36:37], v[66:67]
	v_add_f64 v[42:43], v[42:43], v[56:57]
	v_fma_f64 v[12:13], v[83:84], -0.5, v[12:13]
	v_fma_f64 v[56:57], v[85:86], -0.5, v[14:15]
	;; [unrolled: 1-line block ×3, first 2 shown]
	v_add_f64 v[105:106], v[18:19], -v[16:17]
	v_add_f64 v[83:84], v[95:96], v[97:98]
	v_fma_f64 v[95:96], v[38:39], s[8:9], v[22:23]
	v_add_f64 v[107:108], v[46:47], -v[60:61]
	v_add_f64 v[109:110], v[20:21], -v[64:65]
	v_add_f64 v[85:86], v[99:100], v[101:102]
	v_add_f64 v[36:37], v[36:37], v[68:69]
	v_fma_f64 v[22:23], v[38:39], s[16:17], v[22:23]
	v_fma_f64 v[97:98], v[58:59], s[16:17], v[12:13]
	;; [unrolled: 1-line block ×4, first 2 shown]
	v_add_f64 v[89:90], v[89:90], v[60:61]
	v_fma_f64 v[101:102], v[105:106], s[8:9], v[56:57]
	v_fma_f64 v[14:15], v[103:104], s[8:9], v[14:15]
	;; [unrolled: 1-line block ×4, first 2 shown]
	v_mul_f64 v[127:128], v[2:3], v[93:94]
	v_mul_f64 v[93:94], v[6:7], v[93:94]
	v_add_f64 v[87:88], v[107:108], v[109:110]
	v_add_f64 v[107:108], v[36:37], v[70:71]
	v_fma_f64 v[22:23], v[58:59], s[14:15], v[22:23]
	v_fma_f64 v[36:37], v[38:39], s[6:7], v[97:98]
	;; [unrolled: 1-line block ×4, first 2 shown]
	v_add_f64 v[89:90], v[89:90], v[64:65]
	v_fma_f64 v[58:59], v[103:104], s[6:7], v[101:102]
	v_fma_f64 v[14:15], v[105:106], s[14:15], v[14:15]
	;; [unrolled: 1-line block ×8, first 2 shown]
	v_fma_f64 v[38:39], v[6:7], v[91:92], -v[127:128]
	v_fma_f64 v[36:37], v[2:3], v[91:92], v[93:94]
	v_add_f64 v[89:90], v[89:90], v[20:21]
	v_fma_f64 v[58:59], v[87:88], s[2:3], v[58:59]
	v_fma_f64 v[14:15], v[85:86], s[2:3], v[14:15]
	;; [unrolled: 1-line block ×3, first 2 shown]
	ds_write2_b64 v82, v[107:108], v[95:96] offset1:2
	ds_write2_b64 v82, v[42:43], v[12:13] offset0:4 offset1:6
	ds_write_b64 v82, v[22:23] offset:64
	ds_write2_b64 v73, v[89:90], v[58:59] offset1:2
	ds_write2_b64 v73, v[83:84], v[14:15] offset0:4 offset1:6
	ds_write_b64 v73, v[56:57] offset:64
	v_lshrrev_b32_e32 v56, 1, v81
	s_and_saveexec_b64 s[18:19], vcc
	s_cbranch_execz .LBB0_25
; %bb.24:
	v_add_f64 v[2:3], v[38:39], v[34:35]
	v_add_f64 v[6:7], v[30:31], v[32:33]
	v_add_f64 v[14:15], v[36:37], -v[26:27]
	v_add_f64 v[22:23], v[4:5], v[38:39]
	v_add_f64 v[12:13], v[28:29], -v[24:25]
	v_add_f64 v[42:43], v[32:33], -v[34:35]
	;; [unrolled: 1-line block ×4, first 2 shown]
	v_fma_f64 v[2:3], v[2:3], -0.5, v[4:5]
	v_fma_f64 v[4:5], v[6:7], -0.5, v[4:5]
	v_add_f64 v[6:7], v[30:31], -v[38:39]
	v_add_f64 v[22:23], v[22:23], v[30:31]
	v_fma_f64 v[85:86], v[12:13], s[8:9], v[2:3]
	v_fma_f64 v[87:88], v[14:15], s[8:9], v[4:5]
	;; [unrolled: 1-line block ×4, first 2 shown]
	v_add_f64 v[6:7], v[6:7], v[42:43]
	v_add_f64 v[42:43], v[57:58], v[83:84]
	;; [unrolled: 1-line block ×3, first 2 shown]
	v_fma_f64 v[57:58], v[14:15], s[14:15], v[85:86]
	v_fma_f64 v[83:84], v[12:13], s[6:7], v[87:88]
	;; [unrolled: 1-line block ×4, first 2 shown]
	v_add_f64 v[12:13], v[22:23], v[34:35]
	v_fma_f64 v[14:15], v[6:7], s[2:3], v[57:58]
	v_fma_f64 v[22:23], v[42:43], s[2:3], v[83:84]
	;; [unrolled: 1-line block ×4, first 2 shown]
	v_mul_u32_u24_e32 v6, 10, v56
	v_or_b32_e32 v6, v6, v72
	v_lshl_add_u32 v6, v6, 3, 0
	ds_write2_b64 v6, v[12:13], v[22:23] offset1:2
	ds_write2_b64 v6, v[2:3], v[14:15] offset0:4 offset1:6
	ds_write_b64 v6, v[4:5] offset:64
.LBB0_25:
	s_or_b64 exec, exec, s[18:19]
	v_add_f64 v[2:3], v[62:63], v[50:51]
	v_add_f64 v[4:5], v[8:9], v[52:53]
	v_add_f64 v[6:7], v[54:55], -v[70:71]
	v_add_f64 v[42:43], v[52:53], v[40:41]
	v_add_f64 v[12:13], v[66:67], -v[68:69]
	v_add_f64 v[14:15], v[52:53], -v[62:63]
	;; [unrolled: 1-line block ×4, first 2 shown]
	v_fma_f64 v[2:3], v[2:3], -0.5, v[8:9]
	v_add_f64 v[54:55], v[50:51], -v[40:41]
	v_add_f64 v[66:67], v[48:49], v[44:45]
	v_add_f64 v[4:5], v[4:5], v[62:63]
	v_fma_f64 v[8:9], v[42:43], -0.5, v[8:9]
	v_add_f64 v[20:21], v[46:47], -v[20:21]
	v_add_f64 v[46:47], v[60:61], -v[64:65]
	v_add_f64 v[59:60], v[18:19], v[16:17]
	v_fma_f64 v[42:43], v[6:7], s[16:17], v[2:3]
	v_add_f64 v[14:15], v[14:15], v[22:23]
	v_add_f64 v[22:23], v[52:53], v[54:55]
	v_fma_f64 v[52:53], v[66:67], -0.5, v[10:11]
	v_add_f64 v[4:5], v[4:5], v[50:51]
	v_fma_f64 v[2:3], v[6:7], s[8:9], v[2:3]
	v_fma_f64 v[50:51], v[12:13], s[8:9], v[8:9]
	v_add_f64 v[57:58], v[10:11], v[18:19]
	v_fma_f64 v[42:43], v[12:13], s[14:15], v[42:43]
	v_fma_f64 v[10:11], v[59:60], -0.5, v[10:11]
	v_fma_f64 v[8:9], v[12:13], s[16:17], v[8:9]
	s_waitcnt lgkmcnt(0)
	v_add_f64 v[59:60], v[4:5], v[40:41]
	v_fma_f64 v[2:3], v[12:13], s[6:7], v[2:3]
	v_fma_f64 v[4:5], v[6:7], s[14:15], v[50:51]
	v_add_f64 v[12:13], v[18:19], -v[48:49]
	v_fma_f64 v[50:51], v[14:15], s[2:3], v[42:43]
	v_add_f64 v[40:41], v[16:17], -v[44:45]
	v_fma_f64 v[42:43], v[20:21], s[8:9], v[52:53]
	v_add_f64 v[54:55], v[57:58], v[48:49]
	v_fma_f64 v[57:58], v[20:21], s[16:17], v[52:53]
	v_fma_f64 v[52:53], v[46:47], s[8:9], v[10:11]
	v_add_f64 v[18:19], v[48:49], -v[18:19]
	v_add_f64 v[48:49], v[44:45], -v[16:17]
	v_fma_f64 v[10:11], v[46:47], s[16:17], v[10:11]
	v_fma_f64 v[6:7], v[6:7], s[6:7], v[8:9]
	v_add_f64 v[12:13], v[12:13], v[40:41]
	v_fma_f64 v[40:41], v[46:47], s[6:7], v[42:43]
	v_add_f64 v[8:9], v[54:55], v[44:45]
	v_fma_f64 v[44:45], v[46:47], s[14:15], v[57:58]
	v_fma_f64 v[42:43], v[20:21], s[14:15], v[52:53]
	v_add_f64 v[18:19], v[18:19], v[48:49]
	v_fma_f64 v[10:11], v[20:21], s[6:7], v[10:11]
	v_fma_f64 v[48:49], v[22:23], s[2:3], v[4:5]
	;; [unrolled: 1-line block ×4, first 2 shown]
	v_lshl_add_u32 v40, v79, 3, 0
	v_fma_f64 v[46:47], v[14:15], s[2:3], v[2:3]
	v_fma_f64 v[57:58], v[12:13], s[2:3], v[44:45]
	v_fma_f64 v[63:64], v[18:19], s[2:3], v[42:43]
	v_add_u32_e32 v41, 0x400, v40
	v_add_u32_e32 v42, 0xc00, v40
	;; [unrolled: 1-line block ×4, first 2 shown]
	v_add_f64 v[54:55], v[8:9], v[16:17]
	v_fma_f64 v[65:66], v[18:19], s[2:3], v[10:11]
	s_barrier
	ds_read2_b64 v[2:5], v80 offset1:110
	ds_read2_b64 v[18:21], v41 offset0:92 offset1:202
	ds_read2_b64 v[14:17], v42 offset0:56 offset1:166
	;; [unrolled: 1-line block ×4, first 2 shown]
	ds_read_b64 v[22:23], v80 offset:8800
	s_waitcnt lgkmcnt(0)
	s_barrier
	ds_write2_b64 v82, v[59:60], v[50:51] offset1:2
	ds_write2_b64 v82, v[48:49], v[52:53] offset0:4 offset1:6
	ds_write_b64 v82, v[46:47] offset:64
	ds_write2_b64 v73, v[54:55], v[57:58] offset1:2
	ds_write2_b64 v73, v[63:64], v[65:66] offset0:4 offset1:6
	ds_write_b64 v73, v[61:62] offset:64
	s_and_saveexec_b64 s[2:3], vcc
	s_cbranch_execz .LBB0_27
; %bb.26:
	v_add_f64 v[45:46], v[28:29], v[24:25]
	v_add_f64 v[34:35], v[38:39], -v[34:35]
	v_add_f64 v[38:39], v[36:37], v[26:27]
	v_add_f64 v[47:48], v[0:1], v[36:37]
	v_add_f64 v[30:31], v[30:31], -v[32:33]
	s_mov_b32 s6, 0x134454ff
	s_mov_b32 s7, 0xbfee6f0e
	;; [unrolled: 1-line block ×3, first 2 shown]
	v_fma_f64 v[32:33], v[45:46], -0.5, v[0:1]
	v_add_f64 v[45:46], v[36:37], -v[28:29]
	v_fma_f64 v[0:1], v[38:39], -0.5, v[0:1]
	v_add_f64 v[38:39], v[26:27], -v[24:25]
	v_add_f64 v[36:37], v[28:29], -v[36:37]
	v_add_f64 v[28:29], v[47:48], v[28:29]
	s_mov_b32 s14, s6
	v_add_f64 v[49:50], v[24:25], -v[26:27]
	v_fma_f64 v[47:48], v[34:35], s[6:7], v[32:33]
	v_fma_f64 v[32:33], v[34:35], s[14:15], v[32:33]
	;; [unrolled: 1-line block ×4, first 2 shown]
	s_mov_b32 s8, 0x4755a5e
	s_mov_b32 s9, 0xbfe2cf23
	v_add_f64 v[38:39], v[45:46], v[38:39]
	v_add_f64 v[24:25], v[28:29], v[24:25]
	v_fma_f64 v[28:29], v[30:31], s[8:9], v[47:48]
	s_mov_b32 s7, 0x3fe2cf23
	s_mov_b32 s6, s8
	v_fma_f64 v[45:46], v[34:35], s[8:9], v[51:52]
	v_add_f64 v[36:37], v[36:37], v[49:50]
	v_fma_f64 v[0:1], v[34:35], s[6:7], v[0:1]
	v_fma_f64 v[30:31], v[30:31], s[6:7], v[32:33]
	s_mov_b32 s6, 0x372fe950
	s_mov_b32 s7, 0x3fd3c6ef
	v_add_f64 v[24:25], v[24:25], v[26:27]
	v_fma_f64 v[26:27], v[38:39], s[6:7], v[28:29]
	v_mul_u32_u24_e32 v32, 10, v56
	v_fma_f64 v[28:29], v[36:37], s[6:7], v[45:46]
	v_fma_f64 v[0:1], v[36:37], s[6:7], v[0:1]
	;; [unrolled: 1-line block ×3, first 2 shown]
	v_or_b32_e32 v32, v32, v72
	v_lshl_add_u32 v32, v32, 3, 0
	ds_write2_b64 v32, v[24:25], v[26:27] offset1:2
	ds_write2_b64 v32, v[28:29], v[0:1] offset0:4 offset1:6
	ds_write_b64 v32, v[30:31] offset:64
.LBB0_27:
	s_or_b64 exec, exec, s[2:3]
	s_movk_i32 s2, 0xcd
	v_mul_lo_u16_sdwa v0, v79, s2 dst_sel:DWORD dst_unused:UNUSED_PAD src0_sel:BYTE_0 src1_sel:DWORD
	v_lshrrev_b16_e32 v0, 11, v0
	v_mul_lo_u16_e32 v1, 10, v0
	v_sub_u16_e32 v1, v79, v1
	v_mov_b32_e32 v24, 10
	v_mul_u32_u24_sdwa v24, v1, v24 dst_sel:DWORD dst_unused:UNUSED_PAD src0_sel:BYTE_0 src1_sel:DWORD
	v_lshlrev_b32_e32 v69, 4, v24
	s_waitcnt lgkmcnt(0)
	s_barrier
	global_load_dwordx4 v[24:27], v69, s[12:13] offset:128
	global_load_dwordx4 v[28:31], v69, s[12:13] offset:144
	;; [unrolled: 1-line block ×10, first 2 shown]
	ds_read2_b64 v[69:72], v80 offset1:110
	ds_read2_b64 v[81:84], v41 offset0:92 offset1:202
	ds_read2_b64 v[85:88], v42 offset0:56 offset1:166
	;; [unrolled: 1-line block ×4, first 2 shown]
	ds_read_b64 v[97:98], v80 offset:8800
	s_mov_b32 s6, 0xf8bb580b
	s_mov_b32 s7, 0xbfe14ced
	s_mov_b32 s2, 0x8764f0ba
	s_mov_b32 s8, 0x8eee2c13
	s_mov_b32 s16, 0x43842ef
	s_mov_b32 s20, 0xbb3a28a1
	s_mov_b32 s24, 0xfd768dbf
	s_mov_b32 s3, 0x3feaeb8c
	s_mov_b32 s9, 0xbfed1bb4
	s_mov_b32 s17, 0xbfefac9e
	s_mov_b32 s21, 0xbfe82f19
	s_mov_b32 s25, 0xbfd207e7
	s_mov_b32 s14, 0xd9c712b6
	s_mov_b32 s18, 0x640f44db
	s_mov_b32 s22, 0x7f775887
	s_mov_b32 s26, 0x9bcd5057
	s_mov_b32 s15, 0x3fda9628
	s_mov_b32 s19, 0xbfc2375f
	s_mov_b32 s23, 0xbfe4f49e
	s_mov_b32 s27, 0xbfeeb42a
	s_mov_b32 s29, 0x3fd207e7
	s_mov_b32 s28, s24
	s_mov_b32 s35, 0x3fefac9e
	s_mov_b32 s34, s16
	s_mov_b32 s31, 0x3fe14ced
	s_mov_b32 s30, s6
	s_mov_b32 s37, 0x3fed1bb4
	s_mov_b32 s36, s8
	v_mul_u32_u24_e32 v0, 0x370, v0
	s_waitcnt vmcnt(0) lgkmcnt(0)
	s_barrier
	v_mul_f64 v[99:100], v[71:72], v[26:27]
	v_mul_f64 v[26:27], v[4:5], v[26:27]
	;; [unrolled: 1-line block ×12, first 2 shown]
	v_fma_f64 v[4:5], v[4:5], v[24:25], -v[99:100]
	v_fma_f64 v[24:25], v[71:72], v[24:25], v[26:27]
	v_mul_f64 v[113:114], v[93:94], v[59:60]
	v_mul_f64 v[59:60], v[6:7], v[59:60]
	v_fma_f64 v[18:19], v[18:19], v[28:29], -v[101:102]
	v_fma_f64 v[26:27], v[81:82], v[28:29], v[30:31]
	v_fma_f64 v[20:21], v[20:21], v[32:33], -v[103:104]
	v_fma_f64 v[28:29], v[83:84], v[32:33], v[34:35]
	v_fma_f64 v[32:33], v[87:88], v[45:46], v[47:48]
	v_fma_f64 v[10:11], v[10:11], v[49:50], -v[109:110]
	v_fma_f64 v[34:35], v[89:90], v[49:50], v[51:52]
	v_fma_f64 v[8:9], v[8:9], v[61:62], -v[115:116]
	v_fma_f64 v[47:48], v[95:96], v[61:62], v[63:64]
	v_add_f64 v[49:50], v[2:3], v[4:5]
	v_add_f64 v[51:52], v[69:70], v[24:25]
	v_mul_f64 v[105:106], v[85:86], v[38:39]
	v_mul_f64 v[38:39], v[14:15], v[38:39]
	v_fma_f64 v[16:17], v[16:17], v[45:46], -v[107:108]
	v_fma_f64 v[6:7], v[6:7], v[57:58], -v[113:114]
	v_fma_f64 v[45:46], v[93:94], v[57:58], v[59:60]
	v_add_f64 v[57:58], v[18:19], v[8:9]
	v_add_f64 v[59:60], v[26:27], v[47:48]
	v_add_f64 v[61:62], v[18:19], -v[8:9]
	v_add_f64 v[63:64], v[26:27], -v[47:48]
	v_add_f64 v[18:19], v[49:50], v[18:19]
	v_add_f64 v[26:27], v[51:52], v[26:27]
	v_fma_f64 v[14:15], v[14:15], v[36:37], -v[105:106]
	v_fma_f64 v[30:31], v[85:86], v[36:37], v[38:39]
	v_mul_f64 v[117:118], v[97:98], v[67:68]
	v_mul_f64 v[111:112], v[91:92], v[55:56]
	;; [unrolled: 1-line block ×4, first 2 shown]
	v_add_f64 v[18:19], v[18:19], v[20:21]
	v_add_f64 v[26:27], v[26:27], v[28:29]
	v_mul_f64 v[89:90], v[61:62], s[8:9]
	v_mul_f64 v[87:88], v[63:64], s[8:9]
	v_fma_f64 v[22:23], v[22:23], v[65:66], -v[117:118]
	v_fma_f64 v[12:13], v[12:13], v[53:54], -v[111:112]
	v_fma_f64 v[36:37], v[91:92], v[53:54], v[55:56]
	v_fma_f64 v[38:39], v[97:98], v[65:66], v[67:68]
	v_add_f64 v[18:19], v[18:19], v[14:15]
	v_add_f64 v[26:27], v[26:27], v[30:31]
	v_mul_f64 v[91:92], v[63:64], s[20:21]
	v_mul_f64 v[93:94], v[61:62], s[20:21]
	v_add_f64 v[53:54], v[4:5], v[22:23]
	v_add_f64 v[4:5], v[4:5], -v[22:23]
	v_add_f64 v[55:56], v[24:25], v[38:39]
	v_add_f64 v[18:19], v[18:19], v[16:17]
	;; [unrolled: 1-line block ×3, first 2 shown]
	v_add_f64 v[24:25], v[24:25], -v[38:39]
	v_fma_f64 v[115:116], v[57:58], s[22:23], -v[91:92]
	v_fma_f64 v[117:118], v[59:60], s[22:23], v[93:94]
	v_mul_f64 v[51:52], v[4:5], s[6:7]
	v_mul_f64 v[67:68], v[4:5], s[8:9]
	;; [unrolled: 1-line block ×3, first 2 shown]
	v_add_f64 v[18:19], v[18:19], v[10:11]
	v_add_f64 v[26:27], v[26:27], v[34:35]
	v_mul_f64 v[49:50], v[24:25], s[6:7]
	v_mul_f64 v[85:86], v[4:5], s[20:21]
	v_mul_f64 v[4:5], v[4:5], s[24:25]
	v_fma_f64 v[97:98], v[55:56], s[2:3], v[51:52]
	v_mul_f64 v[65:66], v[24:25], s[8:9]
	v_mul_f64 v[71:72], v[24:25], s[16:17]
	v_add_f64 v[18:19], v[18:19], v[12:13]
	v_add_f64 v[26:27], v[26:27], v[36:37]
	v_mul_f64 v[83:84], v[24:25], s[20:21]
	v_mul_f64 v[24:25], v[24:25], s[24:25]
	v_fma_f64 v[95:96], v[53:54], s[2:3], -v[49:50]
	v_fma_f64 v[49:50], v[53:54], s[2:3], v[49:50]
	v_fma_f64 v[51:52], v[55:56], s[2:3], -v[51:52]
	v_fma_f64 v[101:102], v[55:56], s[14:15], v[67:68]
	v_add_f64 v[18:19], v[18:19], v[6:7]
	v_add_f64 v[26:27], v[26:27], v[45:46]
	v_fma_f64 v[67:68], v[55:56], s[14:15], -v[67:68]
	v_fma_f64 v[105:106], v[55:56], s[18:19], v[81:82]
	v_fma_f64 v[81:82], v[55:56], s[18:19], -v[81:82]
	v_fma_f64 v[109:110], v[55:56], s[22:23], v[85:86]
	v_fma_f64 v[85:86], v[55:56], s[22:23], -v[85:86]
	v_fma_f64 v[113:114], v[55:56], s[26:27], v[4:5]
	v_fma_f64 v[4:5], v[55:56], s[26:27], -v[4:5]
	v_fma_f64 v[55:56], v[59:60], s[14:15], v[89:90]
	v_add_f64 v[97:98], v[69:70], v[97:98]
	v_add_f64 v[8:9], v[18:19], v[8:9]
	;; [unrolled: 1-line block ×3, first 2 shown]
	v_fma_f64 v[99:100], v[53:54], s[14:15], -v[65:66]
	v_fma_f64 v[65:66], v[53:54], s[14:15], v[65:66]
	v_fma_f64 v[103:104], v[53:54], s[18:19], -v[71:72]
	v_fma_f64 v[71:72], v[53:54], s[18:19], v[71:72]
	;; [unrolled: 2-line block ×5, first 2 shown]
	v_add_f64 v[95:96], v[2:3], v[95:96]
	v_add_f64 v[49:50], v[2:3], v[49:50]
	;; [unrolled: 1-line block ×13, first 2 shown]
	v_mul_f64 v[55:56], v[63:64], s[28:29]
	v_mul_f64 v[69:70], v[61:62], s[28:29]
	v_fma_f64 v[89:90], v[59:60], s[14:15], -v[89:90]
	v_add_f64 v[99:100], v[2:3], v[99:100]
	v_add_f64 v[65:66], v[2:3], v[65:66]
	;; [unrolled: 1-line block ×11, first 2 shown]
	v_mul_f64 v[87:88], v[63:64], s[34:35]
	v_fma_f64 v[91:92], v[57:58], s[22:23], v[91:92]
	v_fma_f64 v[93:94], v[59:60], s[22:23], -v[93:94]
	v_fma_f64 v[95:96], v[57:58], s[26:27], -v[55:56]
	v_fma_f64 v[97:98], v[59:60], s[26:27], v[69:70]
	v_add_f64 v[49:50], v[89:90], v[51:52]
	v_add_f64 v[51:52], v[115:116], v[99:100]
	v_mul_f64 v[89:90], v[61:62], s[34:35]
	v_fma_f64 v[55:56], v[57:58], s[26:27], v[55:56]
	v_fma_f64 v[99:100], v[57:58], s[18:19], -v[87:88]
	v_add_f64 v[65:66], v[91:92], v[65:66]
	v_add_f64 v[67:68], v[93:94], v[67:68]
	;; [unrolled: 1-line block ×4, first 2 shown]
	v_add_f64 v[95:96], v[28:29], -v[45:46]
	v_add_f64 v[97:98], v[20:21], -v[6:7]
	v_mul_f64 v[63:64], v[63:64], s[30:31]
	v_fma_f64 v[87:88], v[57:58], s[18:19], v[87:88]
	v_add_f64 v[53:54], v[117:118], v[101:102]
	v_fma_f64 v[69:70], v[59:60], s[26:27], -v[69:70]
	v_fma_f64 v[101:102], v[59:60], s[18:19], v[89:90]
	v_add_f64 v[55:56], v[55:56], v[71:72]
	v_add_f64 v[71:72], v[99:100], v[107:108]
	v_mul_f64 v[61:62], v[61:62], s[30:31]
	v_fma_f64 v[89:90], v[59:60], s[18:19], -v[89:90]
	v_add_f64 v[6:7], v[20:21], v[6:7]
	v_add_f64 v[20:21], v[28:29], v[45:46]
	v_mul_f64 v[28:29], v[95:96], s[16:17]
	v_mul_f64 v[45:46], v[97:98], s[16:17]
	v_fma_f64 v[99:100], v[57:58], s[2:3], -v[63:64]
	v_add_f64 v[83:84], v[87:88], v[83:84]
	v_fma_f64 v[57:58], v[57:58], s[2:3], v[63:64]
	v_mul_f64 v[87:88], v[95:96], s[28:29]
	v_add_f64 v[69:70], v[69:70], v[81:82]
	v_add_f64 v[81:82], v[101:102], v[109:110]
	v_fma_f64 v[101:102], v[59:60], s[2:3], v[61:62]
	v_add_f64 v[26:27], v[89:90], v[26:27]
	v_fma_f64 v[59:60], v[59:60], s[2:3], -v[61:62]
	v_fma_f64 v[61:62], v[6:7], s[18:19], -v[28:29]
	v_fma_f64 v[63:64], v[20:21], s[18:19], v[45:46]
	v_mul_f64 v[89:90], v[97:98], s[28:29]
	v_add_f64 v[2:3], v[57:58], v[2:3]
	v_fma_f64 v[28:29], v[6:7], s[18:19], v[28:29]
	v_fma_f64 v[45:46], v[20:21], s[18:19], -v[45:46]
	v_fma_f64 v[57:58], v[6:7], s[26:27], -v[87:88]
	v_add_f64 v[4:5], v[59:60], v[4:5]
	v_add_f64 v[24:25], v[61:62], v[24:25]
	;; [unrolled: 1-line block ×3, first 2 shown]
	v_fma_f64 v[59:60], v[20:21], s[26:27], v[89:90]
	v_mul_f64 v[61:62], v[95:96], s[36:37]
	v_mul_f64 v[63:64], v[97:98], s[36:37]
	v_add_f64 v[22:23], v[28:29], v[22:23]
	v_add_f64 v[28:29], v[45:46], v[49:50]
	;; [unrolled: 1-line block ×3, first 2 shown]
	v_fma_f64 v[51:52], v[6:7], s[26:27], v[87:88]
	v_mul_f64 v[87:88], v[95:96], s[6:7]
	v_add_f64 v[49:50], v[59:60], v[53:54]
	v_fma_f64 v[53:54], v[20:21], s[26:27], -v[89:90]
	v_fma_f64 v[57:58], v[6:7], s[14:15], -v[61:62]
	v_fma_f64 v[59:60], v[20:21], s[14:15], v[63:64]
	v_mul_f64 v[89:90], v[97:98], s[6:7]
	v_fma_f64 v[61:62], v[6:7], s[14:15], v[61:62]
	v_fma_f64 v[63:64], v[20:21], s[14:15], -v[63:64]
	v_add_f64 v[51:52], v[51:52], v[65:66]
	v_fma_f64 v[65:66], v[6:7], s[2:3], -v[87:88]
	v_add_f64 v[53:54], v[53:54], v[67:68]
	v_add_f64 v[57:58], v[57:58], v[91:92]
	v_fma_f64 v[87:88], v[6:7], s[2:3], v[87:88]
	v_fma_f64 v[67:68], v[20:21], s[2:3], v[89:90]
	v_add_f64 v[55:56], v[61:62], v[55:56]
	v_add_f64 v[61:62], v[63:64], v[69:70]
	v_mul_f64 v[63:64], v[95:96], s[20:21]
	v_add_f64 v[65:66], v[65:66], v[71:72]
	v_add_f64 v[71:72], v[30:31], -v[36:37]
	v_mul_f64 v[69:70], v[97:98], s[20:21]
	v_add_f64 v[59:60], v[59:60], v[93:94]
	v_add_f64 v[67:68], v[67:68], v[81:82]
	v_add_f64 v[81:82], v[14:15], -v[12:13]
	v_add_f64 v[12:13], v[14:15], v[12:13]
	v_fma_f64 v[91:92], v[6:7], s[22:23], -v[63:64]
	v_add_f64 v[14:15], v[30:31], v[36:37]
	v_mul_f64 v[30:31], v[71:72], s[20:21]
	v_fma_f64 v[6:7], v[6:7], s[22:23], v[63:64]
	v_mul_f64 v[63:64], v[71:72], s[34:35]
	v_fma_f64 v[89:90], v[20:21], s[2:3], -v[89:90]
	v_fma_f64 v[93:94], v[20:21], s[22:23], v[69:70]
	v_add_f64 v[83:84], v[87:88], v[83:84]
	v_mul_f64 v[36:37], v[81:82], s[20:21]
	v_fma_f64 v[20:21], v[20:21], s[22:23], -v[69:70]
	v_mul_f64 v[69:70], v[81:82], s[34:35]
	v_fma_f64 v[87:88], v[12:13], s[22:23], -v[30:31]
	v_fma_f64 v[30:31], v[12:13], s[22:23], v[30:31]
	v_add_f64 v[2:3], v[6:7], v[2:3]
	v_fma_f64 v[6:7], v[12:13], s[18:19], -v[63:64]
	v_add_f64 v[47:48], v[99:100], v[47:48]
	v_add_f64 v[26:27], v[89:90], v[26:27]
	v_fma_f64 v[89:90], v[14:15], s[22:23], v[36:37]
	v_fma_f64 v[36:37], v[14:15], s[22:23], -v[36:37]
	v_add_f64 v[4:5], v[20:21], v[4:5]
	v_fma_f64 v[20:21], v[14:15], s[18:19], v[69:70]
	v_add_f64 v[22:23], v[30:31], v[22:23]
	v_mul_f64 v[30:31], v[71:72], s[6:7]
	v_add_f64 v[6:7], v[6:7], v[45:46]
	v_mul_f64 v[45:46], v[71:72], s[24:25]
	v_add_f64 v[85:86], v[101:102], v[85:86]
	v_add_f64 v[47:48], v[91:92], v[47:48]
	;; [unrolled: 1-line block ×4, first 2 shown]
	v_mul_f64 v[36:37], v[81:82], s[6:7]
	v_add_f64 v[20:21], v[20:21], v[49:50]
	v_mul_f64 v[49:50], v[81:82], s[24:25]
	v_fma_f64 v[63:64], v[12:13], s[18:19], v[63:64]
	v_fma_f64 v[69:70], v[14:15], s[18:19], -v[69:70]
	v_fma_f64 v[87:88], v[12:13], s[2:3], -v[30:31]
	v_fma_f64 v[30:31], v[12:13], s[2:3], v[30:31]
	v_fma_f64 v[91:92], v[12:13], s[26:27], -v[45:46]
	v_add_f64 v[85:86], v[93:94], v[85:86]
	v_add_f64 v[18:19], v[89:90], v[18:19]
	v_fma_f64 v[89:90], v[14:15], s[2:3], v[36:37]
	v_fma_f64 v[36:37], v[14:15], s[2:3], -v[36:37]
	v_fma_f64 v[93:94], v[14:15], s[26:27], v[49:50]
	v_add_f64 v[51:52], v[63:64], v[51:52]
	v_add_f64 v[53:54], v[69:70], v[53:54]
	;; [unrolled: 1-line block ×4, first 2 shown]
	v_add_f64 v[63:64], v[32:33], -v[34:35]
	v_add_f64 v[65:66], v[16:17], -v[10:11]
	v_mul_f64 v[69:70], v[81:82], s[36:37]
	v_add_f64 v[36:37], v[36:37], v[61:62]
	v_add_f64 v[61:62], v[93:94], v[67:68]
	v_mul_f64 v[67:68], v[71:72], s[36:37]
	v_fma_f64 v[49:50], v[14:15], s[26:27], -v[49:50]
	v_add_f64 v[10:11], v[16:17], v[10:11]
	v_add_f64 v[16:17], v[32:33], v[34:35]
	v_mul_f64 v[32:33], v[63:64], s[24:25]
	v_mul_f64 v[34:35], v[65:66], s[24:25]
	v_fma_f64 v[81:82], v[14:15], s[14:15], v[69:70]
	v_fma_f64 v[45:46], v[12:13], s[26:27], v[45:46]
	v_fma_f64 v[71:72], v[12:13], s[14:15], -v[67:68]
	v_add_f64 v[26:27], v[49:50], v[26:27]
	v_fma_f64 v[12:13], v[12:13], s[14:15], v[67:68]
	v_fma_f64 v[14:15], v[14:15], s[14:15], -v[69:70]
	v_fma_f64 v[49:50], v[10:11], s[26:27], -v[32:33]
	v_fma_f64 v[67:68], v[16:17], s[26:27], v[34:35]
	v_add_f64 v[69:70], v[81:82], v[85:86]
	v_mul_f64 v[81:82], v[65:66], s[30:31]
	v_add_f64 v[47:48], v[71:72], v[47:48]
	v_mul_f64 v[71:72], v[63:64], s[30:31]
	v_add_f64 v[2:3], v[12:13], v[2:3]
	v_add_f64 v[57:58], v[87:88], v[57:58]
	v_add_f64 v[12:13], v[49:50], v[24:25]
	v_add_f64 v[24:25], v[67:68], v[18:19]
	v_fma_f64 v[18:19], v[16:17], s[26:27], -v[34:35]
	v_fma_f64 v[34:35], v[16:17], s[2:3], v[81:82]
	v_mul_f64 v[49:50], v[63:64], s[20:21]
	v_mul_f64 v[67:68], v[65:66], s[20:21]
	v_add_f64 v[59:60], v[89:90], v[59:60]
	v_add_f64 v[4:5], v[14:15], v[4:5]
	v_fma_f64 v[14:15], v[10:11], s[26:27], v[32:33]
	v_fma_f64 v[32:33], v[10:11], s[2:3], -v[71:72]
	v_fma_f64 v[71:72], v[10:11], s[2:3], v[71:72]
	v_fma_f64 v[81:82], v[16:17], s[2:3], -v[81:82]
	v_add_f64 v[28:29], v[18:19], v[28:29]
	v_add_f64 v[34:35], v[34:35], v[20:21]
	v_fma_f64 v[18:19], v[10:11], s[22:23], -v[49:50]
	v_fma_f64 v[20:21], v[16:17], s[22:23], v[67:68]
	v_add_f64 v[14:15], v[14:15], v[22:23]
	v_add_f64 v[6:7], v[32:33], v[6:7]
	;; [unrolled: 1-line block ×4, first 2 shown]
	v_fma_f64 v[32:33], v[10:11], s[22:23], v[49:50]
	v_mul_f64 v[53:54], v[63:64], s[36:37]
	v_add_f64 v[18:19], v[18:19], v[57:58]
	v_add_f64 v[57:58], v[20:21], v[59:60]
	v_mul_f64 v[20:21], v[63:64], s[16:17]
	v_fma_f64 v[49:50], v[16:17], s[22:23], -v[67:68]
	v_mul_f64 v[67:68], v[65:66], s[36:37]
	v_mul_f64 v[59:60], v[65:66], s[16:17]
	v_add_f64 v[45:46], v[45:46], v[83:84]
	v_add_f64 v[30:31], v[32:33], v[30:31]
	v_fma_f64 v[32:33], v[10:11], s[14:15], -v[53:54]
	v_fma_f64 v[53:54], v[10:11], s[14:15], v[53:54]
	v_fma_f64 v[65:66], v[10:11], s[18:19], -v[20:21]
	v_fma_f64 v[10:11], v[10:11], s[18:19], v[20:21]
	v_add_f64 v[36:37], v[49:50], v[36:37]
	v_fma_f64 v[49:50], v[16:17], s[14:15], v[67:68]
	v_fma_f64 v[63:64], v[16:17], s[14:15], -v[67:68]
	v_fma_f64 v[67:68], v[16:17], s[18:19], v[59:60]
	v_fma_f64 v[16:17], v[16:17], s[18:19], -v[59:60]
	v_add_f64 v[20:21], v[32:33], v[55:56]
	v_add_f64 v[32:33], v[53:54], v[45:46]
	;; [unrolled: 1-line block ×4, first 2 shown]
	v_mov_b32_e32 v10, 3
	v_lshlrev_b32_sdwa v1, v10, v1 dst_sel:DWORD dst_unused:UNUSED_PAD src0_sel:DWORD src1_sel:BYTE_0
	v_add3_u32 v53, 0, v0, v1
	v_add_f64 v[4:5], v[16:17], v[4:5]
	ds_write2_b64 v53, v[8:9], v[12:13] offset1:10
	ds_write2_b64 v53, v[6:7], v[18:19] offset0:20 offset1:30
	ds_write2_b64 v53, v[20:21], v[45:46] offset0:40 offset1:50
	;; [unrolled: 1-line block ×4, first 2 shown]
	ds_write_b64 v53, v[14:15] offset:800
	s_waitcnt lgkmcnt(0)
	s_barrier
	ds_read2_b64 v[0:3], v80 offset1:110
	ds_read2_b64 v[8:11], v41 offset0:92 offset1:202
	ds_read2_b64 v[20:23], v42 offset0:56 offset1:166
	;; [unrolled: 1-line block ×4, first 2 shown]
	ds_read_b64 v[32:33], v80 offset:8800
	v_add_f64 v[49:50], v[49:50], v[61:62]
	v_add_f64 v[47:48], v[67:68], v[69:70]
	;; [unrolled: 1-line block ×3, first 2 shown]
	s_waitcnt lgkmcnt(0)
	s_barrier
	ds_write2_b64 v53, v[38:39], v[24:25] offset1:10
	ds_write2_b64 v53, v[34:35], v[57:58] offset0:20 offset1:30
	ds_write2_b64 v53, v[49:50], v[47:48] offset0:40 offset1:50
	;; [unrolled: 1-line block ×4, first 2 shown]
	ds_write_b64 v53, v[28:29] offset:800
	s_waitcnt lgkmcnt(0)
	s_barrier
	s_and_saveexec_b64 s[38:39], s[0:1]
	s_cbranch_execz .LBB0_29
; %bb.28:
	v_mul_u32_u24_e32 v4, 10, v79
	v_lshlrev_b32_e32 v4, 4, v4
	global_load_dwordx4 v[24:27], v4, s[12:13] offset:1792
	global_load_dwordx4 v[28:31], v4, s[12:13] offset:1808
	;; [unrolled: 1-line block ×10, first 2 shown]
	v_add_u32_e32 v34, 0xc00, v40
	v_add_u32_e32 v35, 0x1400, v80
	;; [unrolled: 1-line block ×4, first 2 shown]
	ds_read2_b64 v[4:7], v80 offset1:110
	ds_read_b64 v[79:80], v80 offset:8800
	ds_read2_b64 v[38:41], v34 offset0:56 offset1:166
	ds_read2_b64 v[58:61], v35 offset0:20 offset1:130
	;; [unrolled: 1-line block ×4, first 2 shown]
	s_mov_b32 s1, 0x3fe82f19
	s_mov_b32 s0, s20
	s_waitcnt vmcnt(9)
	v_mul_f64 v[34:35], v[22:23], v[26:27]
	s_waitcnt vmcnt(8)
	v_mul_f64 v[36:37], v[16:17], v[30:31]
	s_waitcnt lgkmcnt(3)
	v_mul_f64 v[26:27], v[40:41], v[26:27]
	s_waitcnt lgkmcnt(2)
	v_mul_f64 v[30:31], v[58:59], v[30:31]
	s_waitcnt vmcnt(6)
	v_mul_f64 v[89:90], v[18:19], v[52:53]
	v_mul_f64 v[52:53], v[60:61], v[52:53]
	s_waitcnt vmcnt(4)
	v_mul_f64 v[101:102], v[12:13], v[64:65]
	v_mul_f64 v[48:49], v[20:21], v[46:47]
	s_waitcnt vmcnt(1)
	v_mul_f64 v[107:108], v[2:3], v[87:88]
	s_waitcnt vmcnt(0)
	v_mul_f64 v[109:110], v[32:33], v[93:94]
	v_mul_f64 v[46:47], v[38:39], v[46:47]
	s_waitcnt lgkmcnt(0)
	v_mul_f64 v[64:65], v[95:96], v[64:65]
	v_mul_f64 v[103:104], v[8:9], v[68:69]
	;; [unrolled: 1-line block ×5, first 2 shown]
	v_fma_f64 v[42:43], v[40:41], v[24:25], v[34:35]
	v_fma_f64 v[40:41], v[22:23], v[24:25], -v[26:27]
	v_fma_f64 v[34:35], v[58:59], v[28:29], v[36:37]
	v_fma_f64 v[36:37], v[16:17], v[28:29], -v[30:31]
	v_fma_f64 v[30:31], v[18:19], v[50:51], -v[52:53]
	v_fma_f64 v[24:25], v[95:96], v[62:63], v[101:102]
	v_fma_f64 v[95:96], v[6:7], v[85:86], v[107:108]
	;; [unrolled: 1-line block ×3, first 2 shown]
	v_mul_f64 v[99:100], v[10:11], v[56:57]
	v_mul_f64 v[68:69], v[70:71], v[68:69]
	;; [unrolled: 1-line block ×3, first 2 shown]
	v_fma_f64 v[28:29], v[60:61], v[50:51], v[89:90]
	v_fma_f64 v[46:47], v[20:21], v[44:45], -v[46:47]
	v_fma_f64 v[70:71], v[70:71], v[66:67], v[103:104]
	v_fma_f64 v[20:21], v[97:98], v[81:82], v[105:106]
	v_fma_f64 v[89:90], v[2:3], v[85:86], -v[87:88]
	v_fma_f64 v[2:3], v[32:33], v[91:92], -v[93:94]
	v_add_f64 v[91:92], v[95:96], -v[18:19]
	v_mul_f64 v[56:57], v[72:73], v[56:57]
	v_fma_f64 v[60:61], v[72:73], v[54:55], v[99:100]
	v_fma_f64 v[26:27], v[12:13], v[62:63], -v[64:65]
	v_fma_f64 v[64:65], v[8:9], v[66:67], -v[68:69]
	;; [unrolled: 1-line block ×3, first 2 shown]
	v_add_f64 v[99:100], v[95:96], v[18:19]
	v_add_f64 v[81:82], v[70:71], -v[20:21]
	v_add_f64 v[87:88], v[89:90], v[2:3]
	v_mul_f64 v[8:9], v[91:92], s[24:25]
	v_fma_f64 v[48:49], v[38:39], v[44:45], v[48:49]
	v_fma_f64 v[58:59], v[10:11], v[54:55], -v[56:57]
	v_add_f64 v[97:98], v[70:71], v[20:21]
	v_add_f64 v[85:86], v[89:90], -v[2:3]
	v_add_f64 v[83:84], v[60:61], -v[24:25]
	v_add_f64 v[79:80], v[64:65], v[22:23]
	v_mul_f64 v[6:7], v[99:100], s[26:27]
	v_mul_f64 v[12:13], v[81:82], s[30:31]
	v_fma_f64 v[129:130], v[87:88], s[26:27], v[8:9]
	v_fma_f64 v[8:9], v[87:88], s[26:27], -v[8:9]
	v_add_f64 v[93:94], v[60:61], v[24:25]
	v_add_f64 v[50:51], v[64:65], -v[22:23]
	v_add_f64 v[68:69], v[48:49], -v[28:29]
	v_add_f64 v[62:63], v[58:59], v[26:27]
	v_mul_f64 v[10:11], v[97:98], s[2:3]
	v_mul_f64 v[16:17], v[83:84], s[20:21]
	;; [unrolled: 1-line block ×4, first 2 shown]
	v_fma_f64 v[127:128], v[85:86], s[28:29], v[6:7]
	v_fma_f64 v[6:7], v[85:86], s[24:25], v[6:7]
	;; [unrolled: 1-line block ×3, first 2 shown]
	v_fma_f64 v[12:13], v[79:80], s[2:3], -v[12:13]
	v_add_f64 v[8:9], v[0:1], v[8:9]
	v_add_f64 v[72:73], v[48:49], v[28:29]
	v_add_f64 v[44:45], v[58:59], -v[26:27]
	v_add_f64 v[66:67], v[42:43], -v[34:35]
	v_add_f64 v[56:57], v[46:47], v[30:31]
	v_mul_f64 v[14:15], v[93:94], s[22:23]
	v_mul_f64 v[103:104], v[68:69], s[36:37]
	;; [unrolled: 1-line block ×4, first 2 shown]
	v_fma_f64 v[131:132], v[50:51], s[6:7], v[10:11]
	v_fma_f64 v[10:11], v[50:51], s[30:31], v[10:11]
	;; [unrolled: 1-line block ×3, first 2 shown]
	v_fma_f64 v[16:17], v[62:63], s[22:23], -v[16:17]
	v_add_f64 v[127:128], v[4:5], v[127:128]
	v_add_f64 v[129:130], v[0:1], v[129:130]
	v_fma_f64 v[147:148], v[85:86], s[0:1], v[109:110]
	v_add_f64 v[6:7], v[4:5], v[6:7]
	v_fma_f64 v[149:150], v[87:88], s[22:23], v[113:114]
	v_add_f64 v[8:9], v[12:13], v[8:9]
	v_add_f64 v[54:55], v[42:43], v[34:35]
	v_add_f64 v[38:39], v[46:47], -v[30:31]
	v_add_f64 v[52:53], v[40:41], v[36:37]
	v_mul_f64 v[101:102], v[72:73], s[14:15]
	v_mul_f64 v[107:108], v[66:67], s[16:17]
	;; [unrolled: 1-line block ×4, first 2 shown]
	v_fma_f64 v[135:136], v[44:45], s[0:1], v[14:15]
	v_fma_f64 v[14:15], v[44:45], s[20:21], v[14:15]
	;; [unrolled: 1-line block ×3, first 2 shown]
	v_fma_f64 v[103:104], v[56:57], s[14:15], -v[103:104]
	v_add_f64 v[127:128], v[131:132], v[127:128]
	v_add_f64 v[129:130], v[133:134], v[129:130]
	v_fma_f64 v[131:132], v[50:51], s[16:17], v[111:112]
	v_add_f64 v[133:134], v[4:5], v[147:148]
	v_fma_f64 v[147:148], v[79:80], s[18:19], v[115:116]
	v_add_f64 v[6:7], v[10:11], v[6:7]
	v_add_f64 v[10:11], v[0:1], v[149:150]
	;; [unrolled: 1-line block ×3, first 2 shown]
	v_add_f64 v[32:33], v[40:41], -v[36:37]
	v_mul_f64 v[105:106], v[54:55], s[18:19]
	v_fma_f64 v[139:140], v[38:39], s[8:9], v[101:102]
	v_fma_f64 v[101:102], v[38:39], s[36:37], v[101:102]
	;; [unrolled: 1-line block ×3, first 2 shown]
	v_fma_f64 v[107:108], v[52:53], s[18:19], -v[107:108]
	v_add_f64 v[12:13], v[135:136], v[127:128]
	v_add_f64 v[127:128], v[137:138], v[129:130]
	v_fma_f64 v[129:130], v[44:45], s[30:31], v[117:118]
	v_add_f64 v[131:132], v[131:132], v[133:134]
	v_fma_f64 v[133:134], v[62:63], s[2:3], v[119:120]
	v_add_f64 v[6:7], v[14:15], v[6:7]
	v_add_f64 v[10:11], v[147:148], v[10:11]
	;; [unrolled: 1-line block ×3, first 2 shown]
	v_mul_f64 v[123:124], v[68:69], s[24:25]
	v_fma_f64 v[143:144], v[32:33], s[34:35], v[105:106]
	v_fma_f64 v[105:106], v[32:33], s[16:17], v[105:106]
	v_add_f64 v[12:13], v[139:140], v[12:13]
	v_add_f64 v[14:15], v[141:142], v[127:128]
	;; [unrolled: 1-line block ×3, first 2 shown]
	v_fma_f64 v[109:110], v[85:86], s[20:21], v[109:110]
	v_add_f64 v[101:102], v[101:102], v[6:7]
	v_add_f64 v[129:130], v[133:134], v[10:11]
	;; [unrolled: 1-line block ×3, first 2 shown]
	v_fma_f64 v[103:104], v[87:88], s[22:23], -v[113:114]
	v_add_f64 v[8:9], v[143:144], v[12:13]
	v_add_f64 v[6:7], v[145:146], v[14:15]
	v_fma_f64 v[14:15], v[56:57], s[26:27], v[123:124]
	v_fma_f64 v[113:114], v[79:80], s[18:19], -v[115:116]
	v_add_f64 v[12:13], v[105:106], v[101:102]
	v_fma_f64 v[101:102], v[50:51], s[34:35], v[111:112]
	v_add_f64 v[105:106], v[4:5], v[109:110]
	v_mul_f64 v[111:112], v[91:92], s[16:17]
	v_add_f64 v[103:104], v[0:1], v[103:104]
	v_mul_f64 v[121:122], v[72:73], s[26:27]
	;; [unrolled: 2-line block ×3, first 2 shown]
	v_mul_f64 v[125:126], v[54:55], s[14:15]
	v_mul_f64 v[107:108], v[99:100], s[18:19]
	v_add_f64 v[101:102], v[101:102], v[105:106]
	v_fma_f64 v[105:106], v[44:45], s[6:7], v[117:118]
	v_fma_f64 v[129:130], v[87:88], s[18:19], v[111:112]
	v_add_f64 v[103:104], v[113:114], v[103:104]
	v_fma_f64 v[113:114], v[62:63], s[2:3], -v[119:120]
	v_fma_f64 v[16:17], v[38:39], s[28:29], v[121:122]
	v_fma_f64 v[133:134], v[79:80], s[26:27], v[131:132]
	v_mul_f64 v[135:136], v[83:84], s[36:37]
	v_mul_f64 v[109:110], v[66:67], s[36:37]
	v_add_f64 v[101:102], v[105:106], v[101:102]
	v_add_f64 v[129:130], v[0:1], v[129:130]
	v_fma_f64 v[115:116], v[85:86], s[34:35], v[107:108]
	v_add_f64 v[103:104], v[113:114], v[103:104]
	v_fma_f64 v[113:114], v[38:39], s[24:25], v[121:122]
	;; [unrolled: 2-line block ×3, first 2 shown]
	v_mul_f64 v[117:118], v[97:98], s[26:27]
	v_fma_f64 v[121:122], v[56:57], s[26:27], -v[123:124]
	v_add_f64 v[129:130], v[133:134], v[129:130]
	v_fma_f64 v[133:134], v[62:63], s[14:15], v[135:136]
	v_mul_f64 v[137:138], v[68:69], s[6:7]
	v_add_f64 v[101:102], v[113:114], v[101:102]
	v_fma_f64 v[113:114], v[32:33], s[36:37], v[125:126]
	v_add_f64 v[16:17], v[127:128], v[16:17]
	v_fma_f64 v[127:128], v[52:53], s[14:15], v[109:110]
	;; [unrolled: 2-line block ×3, first 2 shown]
	v_mul_f64 v[119:120], v[93:94], s[14:15]
	v_fma_f64 v[109:110], v[52:53], s[14:15], -v[109:110]
	v_add_f64 v[121:122], v[121:122], v[103:104]
	v_add_f64 v[125:126], v[133:134], v[129:130]
	v_fma_f64 v[129:130], v[56:57], s[2:3], v[137:138]
	v_add_f64 v[103:104], v[113:114], v[101:102]
	v_mul_f64 v[113:114], v[99:100], s[14:15]
	v_fma_f64 v[107:108], v[85:86], s[16:17], v[107:108]
	v_fma_f64 v[111:112], v[87:88], s[18:19], -v[111:112]
	v_add_f64 v[105:106], v[115:116], v[105:106]
	v_fma_f64 v[115:116], v[44:45], s[8:9], v[119:120]
	v_mul_f64 v[123:124], v[72:73], s[2:3]
	v_add_f64 v[101:102], v[109:110], v[121:122]
	v_add_f64 v[109:110], v[129:130], v[125:126]
	v_fma_f64 v[125:126], v[85:86], s[36:37], v[113:114]
	v_mul_f64 v[129:130], v[97:98], s[22:23]
	v_fma_f64 v[117:118], v[50:51], s[28:29], v[117:118]
	v_add_f64 v[107:108], v[4:5], v[107:108]
	v_mul_f64 v[133:134], v[91:92], s[8:9]
	v_fma_f64 v[131:132], v[79:80], s[26:27], -v[131:132]
	v_add_f64 v[111:112], v[0:1], v[111:112]
	v_add_f64 v[105:106], v[115:116], v[105:106]
	v_fma_f64 v[115:116], v[38:39], s[30:31], v[123:124]
	v_add_f64 v[125:126], v[4:5], v[125:126]
	v_fma_f64 v[141:142], v[50:51], s[0:1], v[129:130]
	v_mul_f64 v[143:144], v[93:94], s[26:27]
	v_add_f64 v[107:108], v[117:118], v[107:108]
	v_fma_f64 v[117:118], v[87:88], s[14:15], v[133:134]
	v_mul_f64 v[145:146], v[81:82], s[20:21]
	v_fma_f64 v[119:120], v[44:45], s[36:37], v[119:120]
	v_add_f64 v[111:112], v[131:132], v[111:112]
	v_fma_f64 v[131:132], v[62:63], s[14:15], -v[135:136]
	v_add_f64 v[95:96], v[4:5], v[95:96]
	v_add_f64 v[89:90], v[0:1], v[89:90]
	;; [unrolled: 1-line block ×3, first 2 shown]
	v_mul_f64 v[127:128], v[54:55], s[22:23]
	v_add_f64 v[105:106], v[115:116], v[105:106]
	v_mul_f64 v[115:116], v[66:67], s[20:21]
	v_add_f64 v[125:126], v[141:142], v[125:126]
	v_fma_f64 v[135:136], v[44:45], s[24:25], v[143:144]
	v_mul_f64 v[141:142], v[72:73], s[18:19]
	v_add_f64 v[117:118], v[0:1], v[117:118]
	v_fma_f64 v[147:148], v[79:80], s[22:23], v[145:146]
	;; [unrolled: 3-line block ×3, first 2 shown]
	v_add_f64 v[111:112], v[131:132], v[111:112]
	v_fma_f64 v[123:124], v[56:57], s[2:3], -v[137:138]
	v_add_f64 v[70:71], v[70:71], v[95:96]
	v_add_f64 v[64:65], v[64:65], v[89:90]
	v_fma_f64 v[121:122], v[32:33], s[0:1], v[127:128]
	v_fma_f64 v[139:140], v[52:53], s[22:23], v[115:116]
	v_add_f64 v[125:126], v[135:136], v[125:126]
	v_fma_f64 v[131:132], v[38:39], s[16:17], v[141:142]
	v_add_f64 v[117:118], v[147:148], v[117:118]
	v_fma_f64 v[135:136], v[62:63], s[26:27], v[149:150]
	v_mul_f64 v[137:138], v[68:69], s[34:35]
	v_mul_f64 v[147:148], v[54:55], s[2:3]
	v_add_f64 v[123:124], v[123:124], v[111:112]
	v_fma_f64 v[115:116], v[52:53], s[22:23], -v[115:116]
	v_add_f64 v[60:61], v[60:61], v[70:71]
	v_add_f64 v[58:59], v[58:59], v[64:65]
	;; [unrolled: 1-line block ×3, first 2 shown]
	v_fma_f64 v[111:112], v[32:33], s[20:21], v[127:128]
	v_add_f64 v[125:126], v[131:132], v[125:126]
	v_add_f64 v[117:118], v[135:136], v[117:118]
	v_fma_f64 v[127:128], v[56:57], s[18:19], v[137:138]
	v_fma_f64 v[131:132], v[32:33], s[6:7], v[147:148]
	v_add_f64 v[107:108], v[121:122], v[105:106]
	v_add_f64 v[105:106], v[139:140], v[109:110]
	;; [unrolled: 1-line block ×3, first 2 shown]
	v_mul_f64 v[115:116], v[99:100], s[2:3]
	v_mul_f64 v[64:65], v[91:92], s[6:7]
	v_add_f64 v[48:49], v[48:49], v[60:61]
	v_add_f64 v[46:47], v[46:47], v[58:59]
	;; [unrolled: 1-line block ×4, first 2 shown]
	v_fma_f64 v[113:114], v[85:86], s[8:9], v[113:114]
	v_fma_f64 v[123:124], v[87:88], s[14:15], -v[133:134]
	v_fma_f64 v[125:126], v[85:86], s[30:31], v[115:116]
	v_mul_f64 v[127:128], v[97:98], s[14:15]
	v_fma_f64 v[58:59], v[85:86], s[6:7], v[115:116]
	v_fma_f64 v[85:86], v[87:88], s[2:3], v[64:65]
	v_fma_f64 v[64:65], v[87:88], s[2:3], -v[64:65]
	v_add_f64 v[42:43], v[42:43], v[48:49]
	v_mul_f64 v[48:49], v[81:82], s[8:9]
	v_add_f64 v[40:41], v[40:41], v[46:47]
	v_fma_f64 v[97:98], v[50:51], s[20:21], v[129:130]
	v_add_f64 v[113:114], v[4:5], v[113:114]
	v_add_f64 v[123:124], v[0:1], v[123:124]
	;; [unrolled: 1-line block ×3, first 2 shown]
	v_fma_f64 v[131:132], v[50:51], s[36:37], v[127:128]
	v_mul_f64 v[83:84], v[83:84], s[16:17]
	v_fma_f64 v[50:51], v[50:51], s[8:9], v[127:128]
	v_fma_f64 v[91:92], v[79:80], s[14:15], v[48:49]
	v_add_f64 v[85:86], v[0:1], v[85:86]
	v_add_f64 v[4:5], v[4:5], v[58:59]
	v_fma_f64 v[48:49], v[79:80], s[14:15], -v[48:49]
	v_add_f64 v[0:1], v[0:1], v[64:65]
	v_mul_f64 v[93:94], v[93:94], s[18:19]
	v_add_f64 v[34:35], v[34:35], v[42:43]
	v_add_f64 v[36:37], v[36:37], v[40:41]
	v_fma_f64 v[129:130], v[79:80], s[22:23], -v[145:146]
	v_mul_f64 v[68:69], v[68:69], s[20:21]
	v_fma_f64 v[40:41], v[62:63], s[18:19], v[83:84]
	v_add_f64 v[42:43], v[91:92], v[85:86]
	v_add_f64 v[4:5], v[50:51], v[4:5]
	v_fma_f64 v[50:51], v[62:63], s[18:19], -v[83:84]
	v_add_f64 v[0:1], v[48:49], v[0:1]
	v_add_f64 v[97:98], v[97:98], v[113:114]
	v_fma_f64 v[113:114], v[44:45], s[28:29], v[143:144]
	v_add_f64 v[125:126], v[131:132], v[125:126]
	v_fma_f64 v[95:96], v[44:45], s[34:35], v[93:94]
	v_mul_f64 v[72:73], v[72:73], s[22:23]
	v_fma_f64 v[44:45], v[44:45], s[16:17], v[93:94]
	v_add_f64 v[28:29], v[28:29], v[34:35]
	v_add_f64 v[30:31], v[30:31], v[36:37]
	;; [unrolled: 1-line block ×3, first 2 shown]
	v_fma_f64 v[129:130], v[62:63], s[26:27], -v[149:150]
	v_mul_f64 v[121:122], v[66:67], s[30:31]
	v_mul_f64 v[66:67], v[66:67], s[24:25]
	v_fma_f64 v[34:35], v[56:57], s[22:23], v[68:69]
	v_add_f64 v[36:37], v[40:41], v[42:43]
	v_fma_f64 v[40:41], v[56:57], s[22:23], -v[68:69]
	v_add_f64 v[0:1], v[50:51], v[0:1]
	v_add_f64 v[89:90], v[113:114], v[97:98]
	v_fma_f64 v[113:114], v[38:39], s[34:35], v[141:142]
	v_add_f64 v[70:71], v[95:96], v[125:126]
	v_fma_f64 v[95:96], v[38:39], s[0:1], v[72:73]
	v_mul_f64 v[54:55], v[54:55], s[26:27]
	v_fma_f64 v[38:39], v[38:39], s[20:21], v[72:73]
	v_add_f64 v[4:5], v[44:45], v[4:5]
	v_add_f64 v[24:25], v[24:25], v[28:29]
	;; [unrolled: 1-line block ×4, first 2 shown]
	v_fma_f64 v[129:130], v[56:57], s[18:19], -v[137:138]
	v_fma_f64 v[28:29], v[52:53], s[26:27], v[66:67]
	v_add_f64 v[30:31], v[34:35], v[36:37]
	v_fma_f64 v[34:35], v[52:53], s[26:27], -v[66:67]
	v_add_f64 v[0:1], v[40:41], v[0:1]
	v_fma_f64 v[81:82], v[32:33], s[30:31], v[147:148]
	v_fma_f64 v[46:47], v[32:33], s[28:29], v[54:55]
	;; [unrolled: 1-line block ×3, first 2 shown]
	v_add_f64 v[4:5], v[38:39], v[4:5]
	v_add_f64 v[36:37], v[20:21], v[24:25]
	;; [unrolled: 1-line block ×3, first 2 shown]
	v_mul_lo_u32 v135, s5, v76
	v_mul_lo_u32 v136, s4, v77
	v_mad_u64_u32 v[76:77], s[4:5], s4, v76, 0
	v_add_f64 v[89:90], v[113:114], v[89:90]
	v_add_f64 v[60:61], v[129:130], v[123:124]
	v_fma_f64 v[87:88], v[52:53], s[2:3], -v[121:122]
	v_add3_u32 v77, v77, v136, v135
	v_add_f64 v[24:25], v[28:29], v[30:31]
	v_add_f64 v[28:29], v[34:35], v[0:1]
	v_lshlrev_b64 v[0:1], 4, v[76:77]
	v_add_f64 v[70:71], v[95:96], v[70:71]
	v_add_f64 v[30:31], v[32:33], v[4:5]
	;; [unrolled: 1-line block ×4, first 2 shown]
	v_mov_b32_e32 v18, s11
	v_add_co_u32_e32 v19, vcc, s10, v0
	v_addc_co_u32_e32 v18, vcc, v18, v1, vcc
	v_lshlrev_b64 v[0:1], 4, v[74:75]
	v_add_f64 v[111:112], v[111:112], v[119:120]
	v_fma_f64 v[119:120], v[52:53], s[2:3], v[121:122]
	v_add_f64 v[22:23], v[81:82], v[89:90]
	v_add_f64 v[20:21], v[87:88], v[60:61]
	v_mov_b32_e32 v79, 0
	v_add_co_u32_e32 v19, vcc, v19, v0
	v_addc_co_u32_e32 v18, vcc, v18, v1, vcc
	v_lshlrev_b64 v[0:1], 4, v[78:79]
	s_movk_i32 s0, 0x1000
	v_add_co_u32_e32 v0, vcc, v19, v0
	v_addc_co_u32_e32 v1, vcc, v18, v1, vcc
	v_add_f64 v[26:27], v[46:47], v[70:71]
	global_store_dwordx4 v[0:1], v[2:5], off
	global_store_dwordx4 v[0:1], v[28:31], off offset:1760
	global_store_dwordx4 v[0:1], v[20:23], off offset:3520
	v_add_co_u32_e32 v2, vcc, s0, v0
	v_addc_co_u32_e32 v3, vcc, 0, v1, vcc
	s_movk_i32 s0, 0x2000
	v_add_f64 v[97:98], v[119:120], v[117:118]
	global_store_dwordx4 v[2:3], v[109:112], off offset:1184
	global_store_dwordx4 v[2:3], v[101:104], off offset:2944
	v_add_co_u32_e32 v2, vcc, s0, v0
	v_addc_co_u32_e32 v3, vcc, 0, v1, vcc
	s_movk_i32 s0, 0x3000
	global_store_dwordx4 v[2:3], v[10:13], off offset:608
	global_store_dwordx4 v[2:3], v[6:9], off offset:2368
	v_add_co_u32_e32 v2, vcc, s0, v0
	v_addc_co_u32_e32 v3, vcc, 0, v1, vcc
	v_add_co_u32_e32 v0, vcc, 0x4000, v0
	v_addc_co_u32_e32 v1, vcc, 0, v1, vcc
	global_store_dwordx4 v[2:3], v[14:17], off offset:32
	global_store_dwordx4 v[2:3], v[105:108], off offset:1792
	;; [unrolled: 1-line block ×4, first 2 shown]
.LBB0_29:
	s_endpgm
	.section	.rodata,"a",@progbits
	.p2align	6, 0x0
	.amdhsa_kernel fft_rtc_fwd_len1210_factors_2_5_11_11_wgs_110_tpt_110_halfLds_dp_op_CI_CI_unitstride_sbrr_dirReg
		.amdhsa_group_segment_fixed_size 0
		.amdhsa_private_segment_fixed_size 0
		.amdhsa_kernarg_size 104
		.amdhsa_user_sgpr_count 6
		.amdhsa_user_sgpr_private_segment_buffer 1
		.amdhsa_user_sgpr_dispatch_ptr 0
		.amdhsa_user_sgpr_queue_ptr 0
		.amdhsa_user_sgpr_kernarg_segment_ptr 1
		.amdhsa_user_sgpr_dispatch_id 0
		.amdhsa_user_sgpr_flat_scratch_init 0
		.amdhsa_user_sgpr_private_segment_size 0
		.amdhsa_uses_dynamic_stack 0
		.amdhsa_system_sgpr_private_segment_wavefront_offset 0
		.amdhsa_system_sgpr_workgroup_id_x 1
		.amdhsa_system_sgpr_workgroup_id_y 0
		.amdhsa_system_sgpr_workgroup_id_z 0
		.amdhsa_system_sgpr_workgroup_info 0
		.amdhsa_system_vgpr_workitem_id 0
		.amdhsa_next_free_vgpr 151
		.amdhsa_next_free_sgpr 40
		.amdhsa_reserve_vcc 1
		.amdhsa_reserve_flat_scratch 0
		.amdhsa_float_round_mode_32 0
		.amdhsa_float_round_mode_16_64 0
		.amdhsa_float_denorm_mode_32 3
		.amdhsa_float_denorm_mode_16_64 3
		.amdhsa_dx10_clamp 1
		.amdhsa_ieee_mode 1
		.amdhsa_fp16_overflow 0
		.amdhsa_exception_fp_ieee_invalid_op 0
		.amdhsa_exception_fp_denorm_src 0
		.amdhsa_exception_fp_ieee_div_zero 0
		.amdhsa_exception_fp_ieee_overflow 0
		.amdhsa_exception_fp_ieee_underflow 0
		.amdhsa_exception_fp_ieee_inexact 0
		.amdhsa_exception_int_div_zero 0
	.end_amdhsa_kernel
	.text
.Lfunc_end0:
	.size	fft_rtc_fwd_len1210_factors_2_5_11_11_wgs_110_tpt_110_halfLds_dp_op_CI_CI_unitstride_sbrr_dirReg, .Lfunc_end0-fft_rtc_fwd_len1210_factors_2_5_11_11_wgs_110_tpt_110_halfLds_dp_op_CI_CI_unitstride_sbrr_dirReg
                                        ; -- End function
	.section	.AMDGPU.csdata,"",@progbits
; Kernel info:
; codeLenInByte = 10784
; NumSgprs: 44
; NumVgprs: 151
; ScratchSize: 0
; MemoryBound: 1
; FloatMode: 240
; IeeeMode: 1
; LDSByteSize: 0 bytes/workgroup (compile time only)
; SGPRBlocks: 5
; VGPRBlocks: 37
; NumSGPRsForWavesPerEU: 44
; NumVGPRsForWavesPerEU: 151
; Occupancy: 1
; WaveLimiterHint : 1
; COMPUTE_PGM_RSRC2:SCRATCH_EN: 0
; COMPUTE_PGM_RSRC2:USER_SGPR: 6
; COMPUTE_PGM_RSRC2:TRAP_HANDLER: 0
; COMPUTE_PGM_RSRC2:TGID_X_EN: 1
; COMPUTE_PGM_RSRC2:TGID_Y_EN: 0
; COMPUTE_PGM_RSRC2:TGID_Z_EN: 0
; COMPUTE_PGM_RSRC2:TIDIG_COMP_CNT: 0
	.type	__hip_cuid_fe1032fb8a80d20b,@object ; @__hip_cuid_fe1032fb8a80d20b
	.section	.bss,"aw",@nobits
	.globl	__hip_cuid_fe1032fb8a80d20b
__hip_cuid_fe1032fb8a80d20b:
	.byte	0                               ; 0x0
	.size	__hip_cuid_fe1032fb8a80d20b, 1

	.ident	"AMD clang version 19.0.0git (https://github.com/RadeonOpenCompute/llvm-project roc-6.4.0 25133 c7fe45cf4b819c5991fe208aaa96edf142730f1d)"
	.section	".note.GNU-stack","",@progbits
	.addrsig
	.addrsig_sym __hip_cuid_fe1032fb8a80d20b
	.amdgpu_metadata
---
amdhsa.kernels:
  - .args:
      - .actual_access:  read_only
        .address_space:  global
        .offset:         0
        .size:           8
        .value_kind:     global_buffer
      - .offset:         8
        .size:           8
        .value_kind:     by_value
      - .actual_access:  read_only
        .address_space:  global
        .offset:         16
        .size:           8
        .value_kind:     global_buffer
      - .actual_access:  read_only
        .address_space:  global
        .offset:         24
        .size:           8
        .value_kind:     global_buffer
      - .actual_access:  read_only
        .address_space:  global
        .offset:         32
        .size:           8
        .value_kind:     global_buffer
      - .offset:         40
        .size:           8
        .value_kind:     by_value
      - .actual_access:  read_only
        .address_space:  global
        .offset:         48
        .size:           8
        .value_kind:     global_buffer
      - .actual_access:  read_only
        .address_space:  global
        .offset:         56
        .size:           8
        .value_kind:     global_buffer
      - .offset:         64
        .size:           4
        .value_kind:     by_value
      - .actual_access:  read_only
        .address_space:  global
        .offset:         72
        .size:           8
        .value_kind:     global_buffer
      - .actual_access:  read_only
        .address_space:  global
        .offset:         80
        .size:           8
        .value_kind:     global_buffer
      - .actual_access:  read_only
        .address_space:  global
        .offset:         88
        .size:           8
        .value_kind:     global_buffer
      - .actual_access:  write_only
        .address_space:  global
        .offset:         96
        .size:           8
        .value_kind:     global_buffer
    .group_segment_fixed_size: 0
    .kernarg_segment_align: 8
    .kernarg_segment_size: 104
    .language:       OpenCL C
    .language_version:
      - 2
      - 0
    .max_flat_workgroup_size: 110
    .name:           fft_rtc_fwd_len1210_factors_2_5_11_11_wgs_110_tpt_110_halfLds_dp_op_CI_CI_unitstride_sbrr_dirReg
    .private_segment_fixed_size: 0
    .sgpr_count:     44
    .sgpr_spill_count: 0
    .symbol:         fft_rtc_fwd_len1210_factors_2_5_11_11_wgs_110_tpt_110_halfLds_dp_op_CI_CI_unitstride_sbrr_dirReg.kd
    .uniform_work_group_size: 1
    .uses_dynamic_stack: false
    .vgpr_count:     151
    .vgpr_spill_count: 0
    .wavefront_size: 64
amdhsa.target:   amdgcn-amd-amdhsa--gfx906
amdhsa.version:
  - 1
  - 2
...

	.end_amdgpu_metadata
